;; amdgpu-corpus repo=llvm/llvm-project kind=harvested arch=n/a opt=n/a
// NOTE: Assertions have been autogenerated by utils/update_mc_test_checks.py UTC_ARGS: --unique --sort --version 6
// RUN: llvm-mc -triple=amdgcn -mcpu=gfx900 -show-encoding %s | FileCheck --check-prefix=GFX9 %s

// RUN: not llvm-mc -triple=amdgcn -mcpu=fiji %s -filetype=null 2>&1 | FileCheck --check-prefix=ERR-VI --implicit-check-not=error: %s
// RUN: not llvm-mc -triple=amdgcn -mcpu=bonaire %s -filetype=null 2>&1 | FileCheck --check-prefix=ERR-SICI --implicit-check-not=error: %s
// FIXME: pre-gfx9 errors should be more useful


	;; [unrolled: 1-line block ×5, first 2 shown]
v_add_u32 v1, 4.0, v2
// ERR-SICI: :[[@LINE-1]]:1: error: instruction not supported on this GPU (bonaire): v_add_u32
// ERR-VI: :[[@LINE-2]]:1: error: operands are not valid for this GPU or mode
// GFX9: v_add_u32_e32 v1, 4.0, v2               ; encoding: [0xf6,0x04,0x02,0x68]

v_add_u32 v1, s1, v2
// ERR-SICI: :[[@LINE-1]]:1: error: instruction not supported on this GPU (bonaire): v_add_u32
// ERR-VI: :[[@LINE-2]]:1: error: operands are not valid for this GPU or mode
// GFX9: v_add_u32_e32 v1, s1, v2                ; encoding: [0x01,0x04,0x02,0x68]

v_add_u32 v1, v2, 4.0
// ERR-SICI: :[[@LINE-1]]:1: error: instruction not supported on this GPU (bonaire): v_add_u32
// ERR-VI: :[[@LINE-2]]:1: error: operands are not valid for this GPU or mode
// GFX9: v_add_u32_e64 v1, v2, 4.0               ; encoding: [0x01,0x00,0x34,0xd1,0x02,0xed,0x01,0x00]

v_add_u32 v1, v2, s1
// ERR-SICI: :[[@LINE-1]]:1: error: instruction not supported on this GPU (bonaire): v_add_u32
// ERR-VI: :[[@LINE-2]]:1: error: operands are not valid for this GPU or mode
// GFX9: v_add_u32_e64 v1, v2, s1                ; encoding: [0x01,0x00,0x34,0xd1,0x02,0x03,0x00,0x00]


v_add_u32 v1, v2, v3
// ERR-SICI: :[[@LINE-1]]:1: error: instruction not supported on this GPU (bonaire): v_add_u32
// ERR-VI: :[[@LINE-2]]:1: error: operands are not valid for this GPU or mode
// GFX9: v_add_u32_e32 v1, v2, v3                ; encoding: [0x02,0x07,0x02,0x68]

v_add_u32_e32 v1, s1, v3
// ERR-SICI: :[[@LINE-1]]:1: error: instruction not supported on this GPU (bonaire): v_add_u32
// ERR-VI: :[[@LINE-2]]:1: error: operands are not valid for this GPU or mode
// GFX9: v_add_u32_e32 v1, s1, v3                ; encoding: [0x01,0x06,0x02,0x68]

v_add_u32_e32 v1, v2, v3
// ERR-SICI: :[[@LINE-1]]:1: error: instruction not supported on this GPU (bonaire): v_add_u32
// ERR-VI: :[[@LINE-2]]:1: error: operands are not valid for this GPU or mode
// GFX9: v_add_u32_e32 v1, v2, v3                ; encoding: [0x02,0x07,0x02,0x68]

v_sub_u32 v1, 4.0, v2
// ERR-SICI: :[[@LINE-1]]:1: error: instruction not supported on this GPU (bonaire): v_sub_u32
// ERR-VI: :[[@LINE-2]]:1: error: operands are not valid for this GPU or mode
// GFX9: v_sub_u32_e32 v1, 4.0, v2               ; encoding: [0xf6,0x04,0x02,0x6a]

v_sub_u32 v1, s1, v2
// ERR-SICI: :[[@LINE-1]]:1: error: instruction not supported on this GPU (bonaire): v_sub_u32
// ERR-VI: :[[@LINE-2]]:1: error: operands are not valid for this GPU or mode
// GFX9: v_sub_u32_e32 v1, s1, v2                ; encoding: [0x01,0x04,0x02,0x6a]

v_sub_u32 v1, v2, 4.0
// ERR-SICI: :[[@LINE-1]]:1: error: instruction not supported on this GPU (bonaire): v_sub_u32
// ERR-VI: :[[@LINE-2]]:1: error: operands are not valid for this GPU or mode
// GFX9: v_sub_u32_e64 v1, v2, 4.0               ; encoding: [0x01,0x00,0x35,0xd1,0x02,0xed,0x01,0x00]

v_sub_u32 v1, v2, s1
// ERR-SICI: :[[@LINE-1]]:1: error: instruction not supported on this GPU (bonaire): v_sub_u32
// ERR-VI: :[[@LINE-2]]:1: error: operands are not valid for this GPU or mode
// GFX9: v_sub_u32_e64 v1, v2, s1                ; encoding: [0x01,0x00,0x35,0xd1,0x02,0x03,0x00,0x00]

v_sub_u32 v1, v2, v3
// ERR-SICI: :[[@LINE-1]]:1: error: instruction not supported on this GPU (bonaire): v_sub_u32
// ERR-VI: :[[@LINE-2]]:1: error: operands are not valid for this GPU or mode
// GFX9: v_sub_u32_e32 v1, v2, v3                ; encoding: [0x02,0x07,0x02,0x6a]

v_sub_u32_e32 v1, s1, v3
// ERR-SICI: :[[@LINE-1]]:1: error: instruction not supported on this GPU (bonaire): v_sub_u32
// ERR-VI: :[[@LINE-2]]:1: error: operands are not valid for this GPU or mode
// GFX9: v_sub_u32_e32 v1, s1, v3                ; encoding: [0x01,0x06,0x02,0x6a]

v_sub_u32_e32 v1, v2, v3
// ERR-SICI: :[[@LINE-1]]:1: error: instruction not supported on this GPU (bonaire): v_sub_u32
// ERR-VI: :[[@LINE-2]]:1: error: operands are not valid for this GPU or mode
// GFX9: v_sub_u32_e32 v1, v2, v3                ; encoding: [0x02,0x07,0x02,0x6a]

v_subrev_u32 v1, 4.0, v2
// ERR-SICI: :[[@LINE-1]]:1: error: instruction not supported on this GPU (bonaire): v_subrev_u32
// ERR-VI: :[[@LINE-2]]:1: error: operands are not valid for this GPU or mode
// GFX9: v_subrev_u32_e32 v1, 4.0, v2            ; encoding: [0xf6,0x04,0x02,0x6c]

v_subrev_u32 v1, s1, v2
// ERR-SICI: :[[@LINE-1]]:1: error: instruction not supported on this GPU (bonaire): v_subrev_u32
// ERR-VI: :[[@LINE-2]]:1: error: operands are not valid for this GPU or mode
// GFX9: v_subrev_u32_e32 v1, s1, v2             ; encoding: [0x01,0x04,0x02,0x6c]

v_subrev_u32 v1, v2, 4.0
// ERR-SICI: :[[@LINE-1]]:1: error: instruction not supported on this GPU (bonaire): v_subrev_u32
// ERR-VI: :[[@LINE-2]]:1: error: operands are not valid for this GPU or mode
// GFX9: v_subrev_u32_e64 v1, v2, 4.0            ; encoding: [0x01,0x00,0x36,0xd1,0x02,0xed,0x01,0x00]

v_subrev_u32 v1, v2, s1
// ERR-SICI: :[[@LINE-1]]:1: error: instruction not supported on this GPU (bonaire): v_subrev_u32
// ERR-VI: :[[@LINE-2]]:1: error: operands are not valid for this GPU or mode
// GFX9: v_subrev_u32_e64 v1, v2, s1             ; encoding: [0x01,0x00,0x36,0xd1,0x02,0x03,0x00,0x00]

v_subrev_u32 v1, v2, v3
// ERR-SICI: :[[@LINE-1]]:1: error: instruction not supported on this GPU (bonaire): v_subrev_u32
// ERR-VI: :[[@LINE-2]]:1: error: operands are not valid for this GPU or mode
// GFX9: v_subrev_u32_e32 v1, v2, v3             ; encoding: [0x02,0x07,0x02,0x6c]

v_subrev_u32_e32 v1, s1, v3
// ERR-SICI: :[[@LINE-1]]:1: error: instruction not supported on this GPU (bonaire): v_subrev_u32
// ERR-VI: :[[@LINE-2]]:1: error: operands are not valid for this GPU or mode
// GFX9: v_subrev_u32_e32 v1, s1, v3             ; encoding: [0x01,0x06,0x02,0x6c]

v_subrev_u32_e32 v1, v2, v3
// ERR-SICI: :[[@LINE-1]]:1: error: instruction not supported on this GPU (bonaire): v_subrev_u32
// ERR-VI: :[[@LINE-2]]:1: error: operands are not valid for this GPU or mode
// GFX9: v_subrev_u32_e32 v1, v2, v3             ; encoding: [0x02,0x07,0x02,0x6c]
